;; amdgpu-corpus repo=ROCm/rocFFT kind=compiled arch=gfx1201 opt=O3
	.text
	.amdgcn_target "amdgcn-amd-amdhsa--gfx1201"
	.amdhsa_code_object_version 6
	.protected	bluestein_single_back_len720_dim1_sp_op_CI_CI ; -- Begin function bluestein_single_back_len720_dim1_sp_op_CI_CI
	.globl	bluestein_single_back_len720_dim1_sp_op_CI_CI
	.p2align	8
	.type	bluestein_single_back_len720_dim1_sp_op_CI_CI,@function
bluestein_single_back_len720_dim1_sp_op_CI_CI: ; @bluestein_single_back_len720_dim1_sp_op_CI_CI
; %bb.0:
	s_load_b128 s[4:7], s[0:1], 0x28
	v_mul_u32_u24_e32 v1, 0x223, v0
	v_mov_b32_e32 v53, 0
	s_mov_b32 s2, exec_lo
	s_delay_alu instid0(VALU_DEP_2) | instskip(NEXT) | instid1(VALU_DEP_1)
	v_lshrrev_b32_e32 v1, 16, v1
	v_lshl_add_u32 v52, ttmp9, 1, v1
	s_wait_kmcnt 0x0
	s_delay_alu instid0(VALU_DEP_1)
	v_cmpx_gt_u64_e64 s[4:5], v[52:53]
	s_cbranch_execz .LBB0_23
; %bb.1:
	v_mul_lo_u16 v2, 0x78, v1
	s_clause 0x1
	s_load_b64 s[10:11], s[0:1], 0x0
	s_load_b64 s[8:9], s[0:1], 0x38
	v_and_b32_e32 v1, 1, v1
	v_sub_nc_u16 v0, v0, v2
	s_delay_alu instid0(VALU_DEP_2) | instskip(NEXT) | instid1(VALU_DEP_2)
	v_cmp_eq_u32_e32 vcc_lo, 1, v1
	v_and_b32_e32 v55, 0xffff, v0
	v_cndmask_b32_e64 v56, 0, 0x2d0, vcc_lo
	v_cmp_gt_u16_e32 vcc_lo, 0x48, v0
	s_delay_alu instid0(VALU_DEP_3) | instskip(NEXT) | instid1(VALU_DEP_3)
	v_lshlrev_b32_e32 v57, 3, v55
	v_lshlrev_b32_e32 v58, 3, v56
	s_and_saveexec_b32 s3, vcc_lo
	s_cbranch_execz .LBB0_3
; %bb.2:
	s_load_b64 s[4:5], s[0:1], 0x18
	s_delay_alu instid0(VALU_DEP_1) | instskip(SKIP_1) | instid1(VALU_DEP_1)
	v_lshl_add_u32 v43, v55, 3, v58
	v_add_nc_u32_e32 v42, v58, v57
	v_add_nc_u32_e32 v44, 0x400, v42
	;; [unrolled: 1-line block ×3, first 2 shown]
	s_wait_kmcnt 0x0
	s_load_b128 s[12:15], s[4:5], 0x0
	s_wait_kmcnt 0x0
	v_mad_co_u64_u32 v[0:1], null, s14, v52, 0
	v_mad_co_u64_u32 v[2:3], null, s12, v55, 0
	s_mul_u64 s[4:5], s[12:13], 0x240
	s_delay_alu instid0(VALU_DEP_1) | instskip(NEXT) | instid1(VALU_DEP_1)
	v_mad_co_u64_u32 v[4:5], null, s15, v52, v[1:2]
	v_mad_co_u64_u32 v[5:6], null, s13, v55, v[3:4]
	v_mov_b32_e32 v1, v4
	s_delay_alu instid0(VALU_DEP_1) | instskip(NEXT) | instid1(VALU_DEP_3)
	v_lshlrev_b64_e32 v[0:1], 3, v[0:1]
	v_mov_b32_e32 v3, v5
	s_clause 0x3
	global_load_b64 v[4:5], v57, s[10:11]
	global_load_b64 v[6:7], v57, s[10:11] offset:576
	global_load_b64 v[8:9], v57, s[10:11] offset:1152
	;; [unrolled: 1-line block ×3, first 2 shown]
	v_lshlrev_b64_e32 v[2:3], 3, v[2:3]
	v_add_co_u32 v0, s2, s6, v0
	s_delay_alu instid0(VALU_DEP_1) | instskip(NEXT) | instid1(VALU_DEP_2)
	v_add_co_ci_u32_e64 v1, s2, s7, v1, s2
	v_add_co_u32 v0, s2, v0, v2
	s_wait_alu 0xf1ff
	s_delay_alu instid0(VALU_DEP_2) | instskip(SKIP_1) | instid1(VALU_DEP_2)
	v_add_co_ci_u32_e64 v1, s2, v1, v3, s2
	s_wait_alu 0xfffe
	v_add_co_u32 v2, s2, v0, s4
	s_wait_alu 0xf1ff
	s_delay_alu instid0(VALU_DEP_2)
	v_add_co_ci_u32_e64 v3, s2, s5, v1, s2
	global_load_b64 v[0:1], v[0:1], off
	v_add_co_u32 v12, s2, v2, s4
	s_wait_alu 0xf1ff
	v_add_co_ci_u32_e64 v13, s2, s5, v3, s2
	s_clause 0x3
	global_load_b64 v[16:17], v57, s[10:11] offset:2304
	global_load_b64 v[18:19], v57, s[10:11] offset:2880
	;; [unrolled: 1-line block ×4, first 2 shown]
	v_add_co_u32 v14, s2, v12, s4
	s_wait_alu 0xf1ff
	v_add_co_ci_u32_e64 v15, s2, s5, v13, s2
	s_delay_alu instid0(VALU_DEP_2) | instskip(SKIP_1) | instid1(VALU_DEP_2)
	v_add_co_u32 v24, s2, v14, s4
	s_wait_alu 0xf1ff
	v_add_co_ci_u32_e64 v25, s2, s5, v15, s2
	s_clause 0x2
	global_load_b64 v[2:3], v[2:3], off
	global_load_b64 v[12:13], v[12:13], off
	;; [unrolled: 1-line block ×3, first 2 shown]
	v_add_co_u32 v26, s2, v24, s4
	s_wait_alu 0xf1ff
	v_add_co_ci_u32_e64 v27, s2, s5, v25, s2
	global_load_b64 v[24:25], v[24:25], off
	v_add_co_u32 v28, s2, v26, s4
	s_wait_alu 0xf1ff
	v_add_co_ci_u32_e64 v29, s2, s5, v27, s2
	global_load_b64 v[26:27], v[26:27], off
	;; [unrolled: 4-line block ×5, first 2 shown]
	s_clause 0x1
	global_load_b64 v[36:37], v57, s[10:11] offset:4608
	global_load_b64 v[38:39], v57, s[10:11] offset:5184
	global_load_b64 v[34:35], v[34:35], off
	v_add_nc_u32_e32 v46, 0xc00, v42
	s_wait_loadcnt 0xf
	v_mul_f32_e32 v40, v1, v5
	v_mul_f32_e32 v5, v0, v5
	s_delay_alu instid0(VALU_DEP_2) | instskip(SKIP_2) | instid1(VALU_DEP_3)
	v_fmac_f32_e32 v40, v0, v4
	s_wait_loadcnt 0xa
	v_mul_f32_e32 v0, v3, v7
	v_fma_f32 v41, v1, v4, -v5
	s_wait_loadcnt 0x9
	v_dual_mul_f32 v1, v2, v7 :: v_dual_mul_f32 v4, v13, v9
	s_wait_loadcnt 0x8
	v_mul_f32_e32 v7, v14, v11
	v_fmac_f32_e32 v0, v2, v6
	v_mul_f32_e32 v2, v15, v11
	v_fma_f32 v1, v3, v6, -v1
	v_mul_f32_e32 v3, v12, v9
	s_wait_loadcnt 0x7
	v_mul_f32_e32 v9, v24, v17
	v_mul_f32_e32 v6, v25, v17
	v_fmac_f32_e32 v4, v12, v8
	ds_store_b64 v43, v[40:41]
	v_fma_f32 v5, v13, v8, -v3
	v_fma_f32 v3, v15, v10, -v7
	s_wait_loadcnt 0x6
	v_mul_f32_e32 v8, v27, v19
	v_fma_f32 v7, v25, v16, -v9
	v_mul_f32_e32 v9, v26, v19
	s_wait_loadcnt 0x5
	v_dual_mul_f32 v11, v28, v21 :: v_dual_fmac_f32 v2, v14, v10
	v_mul_f32_e32 v10, v29, v21
	v_fmac_f32_e32 v8, v26, v18
	s_wait_loadcnt 0x4
	v_mul_f32_e32 v12, v31, v23
	v_dual_mul_f32 v13, v30, v23 :: v_dual_fmac_f32 v6, v24, v16
	s_wait_loadcnt 0x2
	v_mul_f32_e32 v14, v33, v37
	v_mul_f32_e32 v15, v32, v37
	s_wait_loadcnt 0x0
	v_mul_f32_e32 v17, v34, v39
	v_mul_f32_e32 v16, v35, v39
	v_fma_f32 v9, v27, v18, -v9
	v_fmac_f32_e32 v10, v28, v20
	v_fma_f32 v11, v29, v20, -v11
	v_fmac_f32_e32 v12, v30, v22
	;; [unrolled: 2-line block ×4, first 2 shown]
	v_fma_f32 v17, v35, v38, -v17
	ds_store_2addr_b64 v42, v[0:1], v[4:5] offset0:72 offset1:144
	ds_store_2addr_b64 v44, v[2:3], v[6:7] offset0:88 offset1:160
	;; [unrolled: 1-line block ×4, first 2 shown]
	ds_store_b64 v42, v[16:17] offset:5184
.LBB0_3:
	s_or_b32 exec_lo, exec_lo, s3
	s_clause 0x1
	s_load_b64 s[4:5], s[0:1], 0x20
	s_load_b64 s[2:3], s[0:1], 0x8
	global_wb scope:SCOPE_SE
	s_wait_dscnt 0x0
	s_wait_kmcnt 0x0
	s_barrier_signal -1
	s_barrier_wait -1
	global_inv scope:SCOPE_SE
                                        ; implicit-def: $vgpr10
                                        ; implicit-def: $vgpr4
                                        ; implicit-def: $vgpr14
                                        ; implicit-def: $vgpr18
                                        ; implicit-def: $vgpr22
	s_and_saveexec_b32 s0, vcc_lo
	s_cbranch_execz .LBB0_5
; %bb.4:
	v_lshl_add_u32 v0, v56, 3, v57
	s_delay_alu instid0(VALU_DEP_1)
	v_add_nc_u32_e32 v1, 0x800, v0
	v_add_nc_u32_e32 v2, 0x1000, v0
	ds_load_2addr_b64 v[20:23], v0 offset1:72
	ds_load_2addr_b64 v[16:19], v0 offset0:144 offset1:216
	ds_load_2addr_b64 v[12:15], v1 offset0:32 offset1:104
	;; [unrolled: 1-line block ×4, first 2 shown]
.LBB0_5:
	s_wait_alu 0xfffe
	s_or_b32 exec_lo, exec_lo, s0
	s_wait_dscnt 0x0
	v_dual_add_f32 v0, v8, v12 :: v_dual_sub_f32 v1, v17, v5
	v_dual_sub_f32 v2, v13, v9 :: v_dual_sub_f32 v3, v16, v12
	v_mul_lo_u16 v62, v55, 10
	s_delay_alu instid0(VALU_DEP_3)
	v_fma_f32 v28, -0.5, v0, v20
	v_sub_f32_e32 v0, v4, v8
	v_sub_f32_e32 v25, v12, v16
	global_wb scope:SCOPE_SE
	s_barrier_signal -1
	v_fmamk_f32 v29, v1, 0x3f737871, v28
	v_fmac_f32_e32 v28, 0xbf737871, v1
	v_add_f32_e32 v24, v4, v16
	s_barrier_wait -1
	global_inv scope:SCOPE_SE
	v_fmac_f32_e32 v29, 0x3f167918, v2
	v_fmac_f32_e32 v28, 0xbf167918, v2
	v_fma_f32 v30, -0.5, v24, v20
	v_sub_f32_e32 v26, v8, v4
	v_dual_add_f32 v24, v9, v13 :: v_dual_add_f32 v37, v11, v15
	v_sub_f32_e32 v27, v6, v10
	s_delay_alu instid0(VALU_DEP_4) | instskip(SKIP_1) | instid1(VALU_DEP_4)
	v_dual_fmamk_f32 v31, v2, 0xbf737871, v30 :: v_dual_add_f32 v0, v0, v3
	v_dual_fmac_f32 v30, 0x3f737871, v2 :: v_dual_sub_f32 v3, v16, v4
	v_fma_f32 v32, -0.5, v24, v21
	s_delay_alu instid0(VALU_DEP_3) | instskip(NEXT) | instid1(VALU_DEP_4)
	v_fmac_f32_e32 v31, 0x3f167918, v1
	v_fmac_f32_e32 v28, 0x3e9e377a, v0
	s_delay_alu instid0(VALU_DEP_4)
	v_fmac_f32_e32 v30, 0xbf167918, v1
	v_add_f32_e32 v1, v5, v17
	v_dual_fmac_f32 v29, 0x3e9e377a, v0 :: v_dual_add_f32 v0, v26, v25
	v_dual_fmamk_f32 v33, v3, 0xbf737871, v32 :: v_dual_sub_f32 v2, v12, v8
	v_sub_f32_e32 v24, v17, v13
	v_sub_f32_e32 v25, v5, v9
	v_fma_f32 v34, -0.5, v1, v21
	v_sub_f32_e32 v1, v13, v17
	v_fmac_f32_e32 v33, 0xbf167918, v2
	v_fmac_f32_e32 v32, 0x3f737871, v3
	s_delay_alu instid0(VALU_DEP_4) | instskip(SKIP_2) | instid1(VALU_DEP_4)
	v_dual_add_f32 v24, v25, v24 :: v_dual_fmamk_f32 v35, v2, 0x3f737871, v34
	v_fmac_f32_e32 v31, 0x3e9e377a, v0
	v_fmac_f32_e32 v34, 0xbf737871, v2
	v_dual_fmac_f32 v32, 0x3f167918, v2 :: v_dual_sub_f32 v25, v15, v11
	s_delay_alu instid0(VALU_DEP_4) | instskip(SKIP_2) | instid1(VALU_DEP_4)
	v_fmac_f32_e32 v33, 0x3e9e377a, v24
	v_fmac_f32_e32 v35, 0xbf167918, v3
	;; [unrolled: 1-line block ×4, first 2 shown]
	v_add_f32_e32 v0, v10, v14
	v_sub_f32_e32 v24, v9, v5
	v_sub_f32_e32 v26, v18, v14
	v_fmac_f32_e32 v34, 0x3f167918, v3
	v_fma_f32 v39, -0.5, v37, v23
	v_fma_f32 v0, -0.5, v0, v22
	v_dual_add_f32 v1, v24, v1 :: v_dual_sub_f32 v2, v19, v7
	v_sub_f32_e32 v36, v10, v6
	v_sub_f32_e32 v37, v18, v6
	s_delay_alu instid0(VALU_DEP_3)
	v_dual_sub_f32 v38, v14, v10 :: v_dual_fmac_f32 v35, 0x3e9e377a, v1
	v_dual_fmac_f32 v34, 0x3e9e377a, v1 :: v_dual_add_f32 v1, v27, v26
	v_sub_f32_e32 v27, v14, v18
	v_fmamk_f32 v24, v2, 0x3f737871, v0
	v_add_f32_e32 v3, v6, v18
	v_fmac_f32_e32 v0, 0xbf737871, v2
	v_sub_f32_e32 v40, v7, v11
	s_delay_alu instid0(VALU_DEP_4) | instskip(SKIP_3) | instid1(VALU_DEP_3)
	v_dual_add_f32 v27, v36, v27 :: v_dual_fmac_f32 v24, 0x3f167918, v25
	v_add_f32_e32 v36, v7, v19
	v_fma_f32 v3, -0.5, v3, v22
	v_sub_f32_e32 v41, v15, v19
	v_fma_f32 v42, -0.5, v36, v23
	s_delay_alu instid0(VALU_DEP_3) | instskip(SKIP_1) | instid1(VALU_DEP_3)
	v_fmamk_f32 v26, v25, 0xbf737871, v3
	v_dual_fmac_f32 v3, 0x3f737871, v25 :: v_dual_sub_f32 v36, v19, v15
	v_fmamk_f32 v43, v38, 0x3f737871, v42
	s_delay_alu instid0(VALU_DEP_3) | instskip(NEXT) | instid1(VALU_DEP_3)
	v_fmac_f32_e32 v26, 0x3f167918, v2
	v_fmac_f32_e32 v3, 0xbf167918, v2
	s_delay_alu instid0(VALU_DEP_3)
	v_fmac_f32_e32 v43, 0xbf167918, v37
	v_fmac_f32_e32 v0, 0xbf167918, v25
	v_fmamk_f32 v25, v37, 0xbf737871, v39
	v_dual_fmac_f32 v39, 0x3f737871, v37 :: v_dual_sub_f32 v44, v11, v7
	v_dual_add_f32 v40, v40, v36 :: v_dual_fmac_f32 v3, 0x3e9e377a, v27
	v_fmac_f32_e32 v42, 0xbf737871, v38
	s_delay_alu instid0(VALU_DEP_3) | instskip(SKIP_2) | instid1(VALU_DEP_4)
	v_dual_fmac_f32 v39, 0x3f167918, v38 :: v_dual_add_f32 v36, v44, v41
	v_fmac_f32_e32 v26, 0x3e9e377a, v27
	v_fmac_f32_e32 v25, 0xbf167918, v38
	;; [unrolled: 1-line block ×3, first 2 shown]
	s_delay_alu instid0(VALU_DEP_4) | instskip(SKIP_1) | instid1(VALU_DEP_4)
	v_dual_mul_f32 v2, 0x3e9e377a, v3 :: v_dual_fmac_f32 v39, 0x3e9e377a, v40
	v_dual_fmac_f32 v43, 0x3e9e377a, v36 :: v_dual_fmac_f32 v24, 0x3e9e377a, v1
	v_fmac_f32_e32 v25, 0x3e9e377a, v40
	s_delay_alu instid0(VALU_DEP_2) | instskip(SKIP_1) | instid1(VALU_DEP_4)
	v_mul_f32_e32 v37, 0x3f737871, v43
	v_fmac_f32_e32 v42, 0x3e9e377a, v36
	v_mul_f32_e32 v40, 0xbf167918, v24
	s_delay_alu instid0(VALU_DEP_3) | instskip(NEXT) | instid1(VALU_DEP_3)
	v_fmac_f32_e32 v37, 0x3e9e377a, v26
	v_fma_f32 v38, 0x3f737871, v42, -v2
	v_mul_f32_e32 v2, 0x3e9e377a, v42
	s_delay_alu instid0(VALU_DEP_4) | instskip(NEXT) | instid1(VALU_DEP_2)
	v_fmac_f32_e32 v40, 0x3f4f1bbd, v25
	v_fma_f32 v42, 0xbf737871, v3, -v2
	s_delay_alu instid0(VALU_DEP_2) | instskip(NEXT) | instid1(VALU_DEP_1)
	v_dual_mul_f32 v36, 0x3f167918, v25 :: v_dual_sub_f32 v25, v33, v40
	v_fmac_f32_e32 v36, 0x3f4f1bbd, v24
	v_mul_f32_e32 v41, 0xbf737871, v26
	v_fmac_f32_e32 v0, 0x3e9e377a, v1
	v_mul_f32_e32 v24, 0x3f4f1bbd, v39
	s_delay_alu instid0(VALU_DEP_3) | instskip(NEXT) | instid1(VALU_DEP_3)
	v_dual_sub_f32 v26, v31, v37 :: v_dual_fmac_f32 v41, 0x3e9e377a, v43
	v_mul_f32_e32 v1, 0x3f4f1bbd, v0
	s_delay_alu instid0(VALU_DEP_3) | instskip(SKIP_1) | instid1(VALU_DEP_4)
	v_fma_f32 v43, 0xbf167918, v0, -v24
	v_sub_f32_e32 v24, v29, v36
	v_dual_sub_f32 v0, v30, v38 :: v_dual_sub_f32 v27, v35, v41
	s_delay_alu instid0(VALU_DEP_4) | instskip(SKIP_2) | instid1(VALU_DEP_3)
	v_fma_f32 v39, 0x3f167918, v39, -v1
	v_sub_f32_e32 v1, v34, v42
	v_sub_f32_e32 v3, v32, v43
	;; [unrolled: 1-line block ×3, first 2 shown]
	s_and_saveexec_b32 s0, vcc_lo
	s_cbranch_execz .LBB0_7
; %bb.6:
	v_dual_add_f32 v17, v17, v21 :: v_dual_add_f32 v16, v16, v20
	v_dual_add_f32 v19, v19, v23 :: v_dual_add_f32 v18, v18, v22
	s_delay_alu instid0(VALU_DEP_2) | instskip(NEXT) | instid1(VALU_DEP_2)
	v_dual_add_f32 v13, v13, v17 :: v_dual_add_f32 v12, v12, v16
	v_dual_add_f32 v15, v15, v19 :: v_dual_add_f32 v14, v14, v18
	s_delay_alu instid0(VALU_DEP_2) | instskip(NEXT) | instid1(VALU_DEP_2)
	v_dual_add_f32 v9, v9, v13 :: v_dual_and_b32 v16, 0xffff, v62
	v_dual_add_f32 v8, v8, v12 :: v_dual_add_f32 v11, v11, v15
	s_delay_alu instid0(VALU_DEP_3) | instskip(NEXT) | instid1(VALU_DEP_3)
	v_dual_add_f32 v10, v10, v14 :: v_dual_add_f32 v15, v33, v40
	v_add_f32_e32 v12, v5, v9
	s_delay_alu instid0(VALU_DEP_3) | instskip(SKIP_1) | instid1(VALU_DEP_4)
	v_dual_add_f32 v4, v4, v8 :: v_dual_add_f32 v13, v7, v11
	v_add_f32_e32 v11, v34, v42
	v_dual_add_f32 v8, v6, v10 :: v_dual_add_f32 v5, v32, v43
	s_delay_alu instid0(VALU_DEP_3) | instskip(SKIP_1) | instid1(VALU_DEP_3)
	v_dual_add_f32 v14, v29, v36 :: v_dual_sub_f32 v7, v12, v13
	v_add_f32_e32 v13, v13, v12
	v_add_f32_e32 v12, v8, v4
	v_add_lshl_u32 v16, v56, v16, 3
	v_dual_add_f32 v9, v35, v41 :: v_dual_sub_f32 v6, v4, v8
	v_add_f32_e32 v10, v30, v38
	v_add_f32_e32 v8, v31, v37
	;; [unrolled: 1-line block ×3, first 2 shown]
	ds_store_b128 v16, v[12:15]
	ds_store_b128 v16, v[8:11] offset:16
	ds_store_b128 v16, v[4:7] offset:32
	;; [unrolled: 1-line block ×4, first 2 shown]
.LBB0_7:
	s_wait_alu 0xfffe
	s_or_b32 exec_lo, exec_lo, s0
	v_add_lshl_u32 v59, v56, v55, 3
	s_load_b128 s[4:7], s[4:5], 0x0
	global_wb scope:SCOPE_SE
	s_wait_dscnt 0x0
	s_wait_kmcnt 0x0
	s_barrier_signal -1
	s_barrier_wait -1
	v_add_nc_u32_e32 v13, 0x400, v59
	global_inv scope:SCOPE_SE
	v_add_co_u32 v40, s0, 0x78, v55
	v_add_nc_u32_e32 v19, 0xc00, v59
	ds_load_2addr_b64 v[14:17], v13 offset0:112 offset1:232
	v_and_b32_e32 v12, 0xff, v55
	v_and_b32_e32 v5, 0xff, v40
	s_wait_alu 0xf1ff
	v_add_co_ci_u32_e64 v41, null, 0, 0, s0
	v_cmp_gt_u16_e64 s0, 0x5a, v55
	v_mul_lo_u16 v4, 0xcd, v12
	s_delay_alu instid0(VALU_DEP_1) | instskip(SKIP_1) | instid1(VALU_DEP_2)
	v_lshrrev_b16 v18, 11, v4
	v_mul_lo_u16 v4, 0xcd, v5
	v_mul_lo_u16 v5, v18, 10
	s_delay_alu instid0(VALU_DEP_2)
	v_lshrrev_b16 v22, 11, v4
	v_and_b32_e32 v28, 0xffff, v18
	ds_load_2addr_b64 v[18:21], v19 offset0:96 offset1:216
	v_sub_nc_u16 v4, v55, v5
	v_mul_lo_u16 v5, v22, 10
	v_mul_u32_u24_e32 v28, 30, v28
	s_delay_alu instid0(VALU_DEP_3) | instskip(NEXT) | instid1(VALU_DEP_3)
	v_and_b32_e32 v23, 0xff, v4
	v_sub_nc_u16 v4, v40, v5
	s_delay_alu instid0(VALU_DEP_2) | instskip(SKIP_3) | instid1(VALU_DEP_1)
	v_lshlrev_b32_e32 v5, 4, v23
	global_load_b128 v[8:11], v5, s[2:3]
	s_wait_loadcnt_dscnt 0x0
	v_dual_mul_f32 v33, v19, v11 :: v_dual_and_b32 v32, 0xff, v4
	v_lshlrev_b32_e32 v4, 4, v32
	global_load_b128 v[4:7], v4, s[2:3]
	s_wait_loadcnt 0x0
	v_dual_mul_f32 v39, v20, v7 :: v_dual_and_b32 v22, 0xffff, v22
	s_delay_alu instid0(VALU_DEP_1) | instskip(NEXT) | instid1(VALU_DEP_1)
	v_mul_u32_u24_e32 v22, 30, v22
	v_dual_fmac_f32 v39, v21, v6 :: v_dual_add_nc_u32 v22, v22, v32
	v_mul_f32_e32 v32, v14, v9
	s_delay_alu instid0(VALU_DEP_2)
	v_add_lshl_u32 v64, v56, v22, 3
	v_mul_f32_e32 v22, v18, v11
	v_add_nc_u32_e32 v23, v28, v23
	ds_load_2addr_b64 v[28:31], v59 offset1:120
	v_fmac_f32_e32 v32, v15, v8
	global_wb scope:SCOPE_SE
	s_wait_dscnt 0x0
	v_fmac_f32_e32 v22, v19, v10
	v_add_lshl_u32 v63, v56, v23, 3
	v_mul_f32_e32 v23, v15, v9
	v_fma_f32 v15, v18, v10, -v33
	v_mul_f32_e32 v18, v17, v5
	v_dual_mul_f32 v33, v21, v7 :: v_dual_add_f32 v34, v32, v22
	s_delay_alu instid0(VALU_DEP_4) | instskip(SKIP_1) | instid1(VALU_DEP_4)
	v_fma_f32 v14, v14, v8, -v23
	v_mul_f32_e32 v23, v16, v5
	v_fma_f32 v16, v16, v4, -v18
	s_barrier_signal -1
	s_barrier_wait -1
	v_add_f32_e32 v19, v14, v15
	v_fmac_f32_e32 v23, v17, v4
	v_fma_f32 v17, v20, v6, -v33
	v_sub_f32_e32 v20, v32, v22
	global_inv scope:SCOPE_SE
	v_dual_add_f32 v18, v28, v14 :: v_dual_add_f32 v21, v29, v32
	v_sub_f32_e32 v14, v14, v15
	v_fma_f32 v36, -0.5, v19, v28
	v_fma_f32 v37, -0.5, v34, v29
	s_delay_alu instid0(VALU_DEP_4) | instskip(SKIP_1) | instid1(VALU_DEP_3)
	v_dual_add_f32 v32, v18, v15 :: v_dual_add_f32 v33, v21, v22
	v_dual_add_f32 v15, v30, v16 :: v_dual_add_f32 v18, v16, v17
	v_dual_add_f32 v22, v23, v39 :: v_dual_fmamk_f32 v35, v14, 0xbf5db3d7, v37
	v_dual_sub_f32 v19, v23, v39 :: v_dual_sub_f32 v16, v16, v17
	v_dual_add_f32 v21, v31, v23 :: v_dual_fmamk_f32 v34, v20, 0x3f5db3d7, v36
	s_delay_alu instid0(VALU_DEP_3) | instskip(SKIP_2) | instid1(VALU_DEP_4)
	v_dual_fmac_f32 v36, 0xbf5db3d7, v20 :: v_dual_fmac_f32 v31, -0.5, v22
	v_fma_f32 v30, -0.5, v18, v30
	v_dual_fmac_f32 v37, 0x3f5db3d7, v14 :: v_dual_add_f32 v38, v15, v17
	v_add_f32_e32 v39, v21, v39
	s_delay_alu instid0(VALU_DEP_4) | instskip(NEXT) | instid1(VALU_DEP_4)
	v_fmamk_f32 v29, v16, 0xbf5db3d7, v31
	v_fmamk_f32 v28, v19, 0x3f5db3d7, v30
	v_fmac_f32_e32 v30, 0xbf5db3d7, v19
	v_fmac_f32_e32 v31, 0x3f5db3d7, v16
	ds_store_2addr_b64 v63, v[32:33], v[34:35] offset1:10
	ds_store_b64 v63, v[36:37] offset:160
	ds_store_2addr_b64 v64, v[38:39], v[28:29] offset1:10
	ds_store_b64 v64, v[30:31] offset:160
	global_wb scope:SCOPE_SE
	s_wait_dscnt 0x0
	s_barrier_signal -1
	s_barrier_wait -1
	global_inv scope:SCOPE_SE
	s_and_saveexec_b32 s1, s0
	s_cbranch_execz .LBB0_9
; %bb.8:
	v_add_nc_u32_e32 v14, 0x800, v59
	v_add_nc_u32_e32 v15, 0x1000, v59
	ds_load_2addr_b64 v[32:35], v59 offset1:90
	ds_load_2addr_b64 v[36:39], v13 offset0:52 offset1:142
	ds_load_2addr_b64 v[28:31], v14 offset0:104 offset1:194
	;; [unrolled: 1-line block ×3, first 2 shown]
.LBB0_9:
	s_wait_alu 0xfffe
	s_or_b32 exec_lo, exec_lo, s1
	v_mul_lo_u16 v12, 0x89, v12
	s_delay_alu instid0(VALU_DEP_1) | instskip(NEXT) | instid1(VALU_DEP_1)
	v_lshrrev_b16 v46, 12, v12
	v_mul_lo_u16 v12, v46, 30
	s_delay_alu instid0(VALU_DEP_1) | instskip(NEXT) | instid1(VALU_DEP_1)
	v_sub_nc_u16 v12, v55, v12
	v_and_b32_e32 v61, 0xff, v12
	s_delay_alu instid0(VALU_DEP_1)
	v_mad_co_u64_u32 v[42:43], null, v61, 56, s[2:3]
	s_clause 0x3
	global_load_b128 v[16:19], v[42:43], off offset:160
	global_load_b128 v[12:15], v[42:43], off offset:176
	;; [unrolled: 1-line block ×3, first 2 shown]
	global_load_b64 v[53:54], v[42:43], off offset:208
	global_wb scope:SCOPE_SE
	s_wait_loadcnt_dscnt 0x0
	s_barrier_signal -1
	s_barrier_wait -1
	global_inv scope:SCOPE_SE
	v_mul_f32_e32 v42, v35, v17
	v_dual_mul_f32 v43, v34, v17 :: v_dual_mul_f32 v44, v37, v19
	v_dual_mul_f32 v45, v36, v19 :: v_dual_mul_f32 v48, v38, v13
	v_dual_mul_f32 v47, v39, v13 :: v_dual_mul_f32 v50, v28, v15
	v_dual_mul_f32 v49, v29, v15 :: v_dual_mul_f32 v60, v30, v21
	v_dual_mul_f32 v51, v31, v21 :: v_dual_mul_f32 v66, v24, v23
	v_dual_mul_f32 v65, v25, v23 :: v_dual_mul_f32 v68, v26, v54
	v_fma_f32 v34, v34, v16, -v42
	v_dual_fmac_f32 v43, v35, v16 :: v_dual_fmac_f32 v50, v29, v14
	v_fma_f32 v35, v36, v18, -v44
	v_dual_fmac_f32 v45, v37, v18 :: v_dual_fmac_f32 v48, v39, v12
	v_fma_f32 v28, v28, v14, -v49
	v_mul_f32_e32 v67, v27, v54
	v_fma_f32 v30, v30, v20, -v51
	v_dual_fmac_f32 v60, v31, v20 :: v_dual_sub_f32 v29, v33, v50
	v_fma_f32 v31, v24, v22, -v65
	v_fmac_f32_e32 v66, v25, v22
	v_fma_f32 v37, v38, v12, -v47
	v_fmac_f32_e32 v68, v27, v53
	v_sub_f32_e32 v24, v32, v28
	v_fma_f32 v25, v26, v53, -v67
	v_sub_f32_e32 v38, v45, v66
	v_dual_sub_f32 v26, v35, v31 :: v_dual_sub_f32 v31, v34, v30
	v_fma_f32 v28, v33, 2.0, -v29
	v_and_b32_e32 v65, 0xffff, v46
	s_delay_alu instid0(VALU_DEP_4) | instskip(NEXT) | instid1(VALU_DEP_4)
	v_dual_sub_f32 v39, v24, v38 :: v_dual_sub_f32 v36, v43, v60
	v_fma_f32 v27, v34, 2.0, -v31
	v_sub_f32_e32 v42, v37, v25
	v_fma_f32 v25, v32, 2.0, -v24
	v_fma_f32 v32, v35, 2.0, -v26
	;; [unrolled: 1-line block ×5, first 2 shown]
	v_add_f32_e32 v43, v29, v26
	v_sub_f32_e32 v26, v25, v32
	s_delay_alu instid0(VALU_DEP_3) | instskip(SKIP_1) | instid1(VALU_DEP_2)
	v_dual_sub_f32 v38, v28, v33 :: v_dual_sub_f32 v37, v27, v34
	v_add_f32_e32 v45, v36, v42
	v_dual_sub_f32 v44, v48, v68 :: v_dual_add_f32 v33, v38, v37
	s_delay_alu instid0(VALU_DEP_1) | instskip(NEXT) | instid1(VALU_DEP_1)
	v_fma_f32 v35, v48, 2.0, -v44
	v_dual_sub_f32 v42, v30, v35 :: v_dual_fmamk_f32 v35, v45, 0x3f3504f3, v43
	v_sub_f32_e32 v44, v31, v44
	s_delay_alu instid0(VALU_DEP_2) | instskip(NEXT) | instid1(VALU_DEP_2)
	v_sub_f32_e32 v32, v26, v42
	v_fmamk_f32 v34, v44, 0x3f3504f3, v39
	s_delay_alu instid0(VALU_DEP_4) | instskip(NEXT) | instid1(VALU_DEP_2)
	v_fmac_f32_e32 v35, 0x3f3504f3, v44
	v_fmac_f32_e32 v34, 0xbf3504f3, v45
	s_and_saveexec_b32 s1, s0
	s_cbranch_execz .LBB0_11
; %bb.10:
	v_fma_f32 v47, v29, 2.0, -v43
	v_fma_f32 v36, v36, 2.0, -v45
	;; [unrolled: 1-line block ×6, first 2 shown]
	v_fmamk_f32 v46, v36, 0xbf3504f3, v47
	v_fma_f32 v24, v30, 2.0, -v42
	v_fmamk_f32 v45, v31, 0xbf3504f3, v48
	v_fma_f32 v38, v25, 2.0, -v26
	v_fma_f32 v27, v27, 2.0, -v37
	v_mul_u32_u24_e32 v30, 0xf0, v65
	v_dual_fmac_f32 v46, 0x3f3504f3, v31 :: v_dual_sub_f32 v25, v28, v24
	s_delay_alu instid0(VALU_DEP_3) | instskip(NEXT) | instid1(VALU_DEP_3)
	v_dual_fmac_f32 v45, 0xbf3504f3, v36 :: v_dual_sub_f32 v24, v38, v27
	v_add_nc_u32_e32 v27, v30, v61
	s_delay_alu instid0(VALU_DEP_3) | instskip(NEXT) | instid1(VALU_DEP_4)
	v_fma_f32 v31, v47, 2.0, -v46
	v_fma_f32 v37, v28, 2.0, -v25
	s_delay_alu instid0(VALU_DEP_4)
	v_fma_f32 v30, v48, 2.0, -v45
	v_fma_f32 v36, v38, 2.0, -v24
	v_add_lshl_u32 v27, v56, v27, 3
	v_fma_f32 v44, v43, 2.0, -v35
	v_fma_f32 v43, v39, 2.0, -v34
	;; [unrolled: 1-line block ×3, first 2 shown]
	ds_store_2addr_b64 v27, v[36:37], v[30:31] offset1:30
	ds_store_2addr_b64 v27, v[28:29], v[43:44] offset0:60 offset1:90
	ds_store_2addr_b64 v27, v[24:25], v[45:46] offset0:120 offset1:150
	;; [unrolled: 1-line block ×3, first 2 shown]
.LBB0_11:
	s_wait_alu 0xfffe
	s_or_b32 exec_lo, exec_lo, s1
	v_lshlrev_b64_e32 v[28:29], 4, v[40:41]
	v_lshlrev_b32_e32 v24, 4, v55
	global_wb scope:SCOPE_SE
	s_wait_dscnt 0x0
	s_barrier_signal -1
	s_barrier_wait -1
	global_inv scope:SCOPE_SE
	v_add_co_u32 v28, s1, s2, v28
	global_load_b128 v[24:27], v24, s[2:3] offset:1840
	s_wait_alu 0xf1ff
	v_add_co_ci_u32_e64 v29, s1, s3, v29, s1
	v_lshl_add_u32 v60, v55, 3, v58
	global_load_b128 v[28:31], v[28:29], off offset:1840
	v_add_nc_u32_e32 v36, 0x400, v59
	v_add_nc_u32_e32 v37, 0xc00, v59
	ds_load_2addr_b64 v[40:43], v36 offset0:112 offset1:232
	ds_load_2addr_b64 v[44:47], v37 offset0:96 offset1:216
	ds_load_2addr_b64 v[36:39], v59 offset1:120
	v_add_nc_u32_e32 v66, v57, v58
	s_wait_loadcnt_dscnt 0x101
	v_dual_mul_f32 v51, v45, v27 :: v_dual_add_nc_u32 v48, 0x780, v60
	v_mul_f32_e32 v49, v41, v25
	v_mul_f32_e32 v50, v40, v25
	v_dual_mul_f32 v67, v44, v27 :: v_dual_add_nc_u32 v68, 0xb00, v66
	s_delay_alu instid0(VALU_DEP_3) | instskip(SKIP_1) | instid1(VALU_DEP_3)
	v_fma_f32 v40, v40, v24, -v49
	s_wait_loadcnt 0x0
	v_dual_mul_f32 v49, v42, v29 :: v_dual_fmac_f32 v50, v41, v24
	v_fma_f32 v41, v44, v26, -v51
	v_fmac_f32_e32 v67, v45, v26
	v_mul_f32_e32 v45, v47, v31
	v_dual_mul_f32 v44, v43, v29 :: v_dual_mul_f32 v51, v46, v31
	s_wait_dscnt 0x0
	v_dual_add_f32 v69, v36, v40 :: v_dual_add_f32 v72, v37, v50
	v_dual_add_f32 v70, v40, v41 :: v_dual_sub_f32 v71, v50, v67
	v_dual_add_f32 v50, v50, v67 :: v_dual_sub_f32 v73, v40, v41
	v_fma_f32 v42, v42, v28, -v44
	v_fma_f32 v46, v46, v30, -v45
	v_dual_fmac_f32 v49, v43, v28 :: v_dual_add_f32 v40, v69, v41
	v_fma_f32 v44, -0.5, v70, v36
	v_fmac_f32_e32 v51, v47, v30
	v_fma_f32 v45, -0.5, v50, v37
	v_add_f32_e32 v37, v42, v46
	v_dual_add_f32 v41, v72, v67 :: v_dual_add_f32 v36, v38, v42
	v_add_f32_e32 v47, v39, v49
	v_dual_sub_f32 v67, v42, v46 :: v_dual_fmamk_f32 v42, v71, 0x3f5db3d7, v44
	v_fmac_f32_e32 v44, 0xbf5db3d7, v71
	v_sub_f32_e32 v50, v49, v51
	v_fma_f32 v38, -0.5, v37, v38
	v_dual_add_f32 v49, v49, v51 :: v_dual_add_f32 v46, v36, v46
	v_fmamk_f32 v43, v73, 0xbf5db3d7, v45
	s_delay_alu instid0(VALU_DEP_3) | instskip(NEXT) | instid1(VALU_DEP_3)
	v_dual_fmac_f32 v45, 0x3f5db3d7, v73 :: v_dual_fmamk_f32 v36, v50, 0x3f5db3d7, v38
	v_dual_fmac_f32 v38, 0xbf5db3d7, v50 :: v_dual_fmac_f32 v39, -0.5, v49
	v_add_f32_e32 v47, v47, v51
	s_delay_alu instid0(VALU_DEP_2)
	v_fmamk_f32 v37, v67, 0xbf5db3d7, v39
	v_fmac_f32_e32 v39, 0x3f5db3d7, v67
	ds_store_2addr_b64 v48, v[42:43], v[44:45] offset1:240
	ds_store_2addr_b64 v60, v[40:41], v[46:47] offset1:120
	ds_store_2addr_b64 v68, v[36:37], v[38:39] offset0:8 offset1:248
	global_wb scope:SCOPE_SE
	s_wait_dscnt 0x0
	s_barrier_signal -1
	s_barrier_wait -1
	global_inv scope:SCOPE_SE
	s_and_saveexec_b32 s1, vcc_lo
	s_cbranch_execz .LBB0_13
; %bb.12:
	s_add_nc_u64 s[2:3], s[10:11], 0x1680
	s_clause 0x9
	global_load_b64 v[83:84], v57, s[10:11] offset:5760
	global_load_b64 v[85:86], v57, s[2:3] offset:576
	;; [unrolled: 1-line block ×10, first 2 shown]
	ds_load_2addr_b64 v[48:51], v60 offset1:72
	v_add_nc_u32_e32 v104, 0x800, v60
	v_add_nc_u32_e32 v105, 0x1000, v60
	s_wait_loadcnt_dscnt 0x800
	v_mul_f32_e32 v107, v51, v86
	ds_load_2addr_b64 v[67:70], v60 offset0:144 offset1:216
	ds_load_2addr_b64 v[71:74], v104 offset0:32 offset1:104
	v_mul_f32_e32 v106, v49, v84
	v_dual_mul_f32 v103, v48, v84 :: v_dual_mul_f32 v84, v50, v86
	ds_load_2addr_b64 v[75:78], v104 offset0:176 offset1:248
	ds_load_2addr_b64 v[79:82], v105 offset0:64 offset1:136
	v_fmac_f32_e32 v84, v51, v85
	s_wait_loadcnt_dscnt 0x402
	v_dual_mul_f32 v108, v68, v88 :: v_dual_mul_f32 v111, v74, v94
	v_dual_mul_f32 v86, v67, v88 :: v_dual_mul_f32 v109, v70, v90
	s_wait_loadcnt_dscnt 0x201
	v_mul_f32_e32 v113, v78, v98
	v_mul_f32_e32 v88, v69, v90
	s_wait_loadcnt_dscnt 0x0
	v_dual_mul_f32 v110, v72, v92 :: v_dual_mul_f32 v115, v82, v102
	v_dual_mul_f32 v90, v71, v92 :: v_dual_fmac_f32 v103, v49, v83
	v_mul_f32_e32 v92, v73, v94
	v_mul_f32_e32 v112, v76, v96
	;; [unrolled: 1-line block ×7, first 2 shown]
	v_fma_f32 v102, v48, v83, -v106
	v_fma_f32 v83, v50, v85, -v107
	;; [unrolled: 1-line block ×3, first 2 shown]
	v_fmac_f32_e32 v86, v68, v87
	v_fma_f32 v87, v69, v89, -v109
	v_fmac_f32_e32 v88, v70, v89
	v_fma_f32 v89, v71, v91, -v110
	;; [unrolled: 2-line block ×7, first 2 shown]
	v_fmac_f32_e32 v100, v82, v101
	ds_store_2addr_b64 v60, v[102:103], v[83:84] offset1:72
	ds_store_2addr_b64 v60, v[85:86], v[87:88] offset0:144 offset1:216
	ds_store_2addr_b64 v104, v[89:90], v[91:92] offset0:32 offset1:104
	;; [unrolled: 1-line block ×4, first 2 shown]
.LBB0_13:
	s_wait_alu 0xfffe
	s_or_b32 exec_lo, exec_lo, s1
	global_wb scope:SCOPE_SE
	s_wait_dscnt 0x0
	s_barrier_signal -1
	s_barrier_wait -1
	global_inv scope:SCOPE_SE
	s_and_saveexec_b32 s1, vcc_lo
	s_cbranch_execz .LBB0_15
; %bb.14:
	v_add_nc_u32_e32 v0, 0x800, v60
	v_add_nc_u32_e32 v1, 0x1000, v60
	ds_load_2addr_b64 v[40:43], v60 offset1:72
	ds_load_2addr_b64 v[44:47], v60 offset0:144 offset1:216
	ds_load_2addr_b64 v[36:39], v0 offset0:32 offset1:104
	ds_load_2addr_b64 v[32:35], v0 offset0:176 offset1:248
	ds_load_2addr_b64 v[0:3], v1 offset0:64 offset1:136
.LBB0_15:
	s_wait_alu 0xfffe
	s_or_b32 exec_lo, exec_lo, s1
	s_wait_dscnt 0x0
	v_dual_add_f32 v49, v0, v44 :: v_dual_sub_f32 v78, v37, v33
	v_dual_add_f32 v48, v32, v36 :: v_dual_sub_f32 v77, v45, v1
	v_sub_f32_e32 v85, v36, v32
	s_delay_alu instid0(VALU_DEP_3) | instskip(SKIP_4) | instid1(VALU_DEP_4)
	v_fma_f32 v69, -0.5, v49, v40
	v_dual_sub_f32 v49, v0, v32 :: v_dual_add_f32 v50, v33, v37
	v_dual_sub_f32 v72, v1, v33 :: v_dual_add_f32 v75, v34, v38
	v_fma_f32 v70, -0.5, v48, v40
	v_sub_f32_e32 v81, v44, v0
	v_fma_f32 v74, -0.5, v50, v41
	v_sub_f32_e32 v50, v45, v37
	v_add_f32_e32 v51, v1, v45
	v_fmamk_f32 v68, v77, 0xbf737871, v70
	v_dual_sub_f32 v48, v44, v36 :: v_dual_fmamk_f32 v67, v78, 0x3f737871, v69
	s_delay_alu instid0(VALU_DEP_4) | instskip(NEXT) | instid1(VALU_DEP_4)
	v_add_f32_e32 v90, v72, v50
	v_fma_f32 v73, -0.5, v51, v41
	v_fma_f32 v83, -0.5, v75, v42
	v_dual_sub_f32 v87, v39, v35 :: v_dual_sub_f32 v76, v46, v38
	s_delay_alu instid0(VALU_DEP_3) | instskip(SKIP_2) | instid1(VALU_DEP_3)
	v_dual_add_f32 v79, v3, v47 :: v_dual_fmamk_f32 v72, v85, 0xbf737871, v73
	v_dual_add_f32 v75, v35, v39 :: v_dual_add_f32 v84, v49, v48
	v_dual_fmac_f32 v67, 0xbf167918, v77 :: v_dual_fmac_f32 v68, 0xbf167918, v78
	v_dual_sub_f32 v49, v32, v0 :: v_dual_fmac_f32 v72, 0x3f167918, v81
	v_dual_sub_f32 v48, v36, v44 :: v_dual_fmamk_f32 v71, v81, 0x3f737871, v74
	s_delay_alu instid0(VALU_DEP_4)
	v_fma_f32 v94, -0.5, v75, v43
	v_sub_f32_e32 v92, v38, v34
	v_fma_f32 v88, -0.5, v79, v43
	v_sub_f32_e32 v91, v46, v2
	v_dual_add_f32 v89, v49, v48 :: v_dual_sub_f32 v82, v47, v3
	v_dual_fmac_f32 v71, 0x3f167918, v85 :: v_dual_add_f32 v50, v2, v46
	s_delay_alu instid0(VALU_DEP_4) | instskip(NEXT) | instid1(VALU_DEP_4)
	v_fmamk_f32 v100, v92, 0xbf737871, v88
	v_fmamk_f32 v79, v91, 0x3f737871, v94
	s_delay_alu instid0(VALU_DEP_4) | instskip(NEXT) | instid1(VALU_DEP_4)
	v_dual_fmamk_f32 v48, v82, 0xbf737871, v83 :: v_dual_sub_f32 v49, v37, v45
	v_dual_fmac_f32 v71, 0x3e9e377a, v90 :: v_dual_sub_f32 v80, v47, v39
	s_delay_alu instid0(VALU_DEP_2)
	v_dual_sub_f32 v51, v33, v1 :: v_dual_fmac_f32 v48, 0xbf167918, v87
	v_dual_sub_f32 v75, v38, v46 :: v_dual_sub_f32 v96, v39, v47
	v_dual_sub_f32 v93, v3, v35 :: v_dual_sub_f32 v98, v34, v2
	v_dual_fmac_f32 v79, 0x3f167918, v92 :: v_dual_fmac_f32 v100, 0x3f167918, v91
	v_sub_f32_e32 v97, v35, v3
	v_fma_f32 v86, -0.5, v50, v42
	s_delay_alu instid0(VALU_DEP_4) | instskip(SKIP_1) | instid1(VALU_DEP_4)
	v_dual_sub_f32 v50, v2, v34 :: v_dual_add_f32 v95, v93, v80
	v_dual_fmac_f32 v68, 0x3e9e377a, v84 :: v_dual_fmac_f32 v67, 0x3e9e377a, v89
	v_dual_add_f32 v93, v97, v96 :: v_dual_add_f32 v96, v98, v75
	v_add_f32_e32 v98, v51, v49
	v_fmamk_f32 v99, v87, 0x3f737871, v86
	s_delay_alu instid0(VALU_DEP_3)
	v_dual_add_f32 v97, v50, v76 :: v_dual_fmac_f32 v100, 0x3e9e377a, v93
	global_wb scope:SCOPE_SE
	v_dual_fmac_f32 v72, 0x3e9e377a, v98 :: v_dual_fmac_f32 v79, 0x3e9e377a, v95
	v_fmac_f32_e32 v48, 0x3e9e377a, v97
	v_mul_f32_e32 v80, 0x3e9e377a, v100
	s_barrier_signal -1
	s_barrier_wait -1
	v_mul_f32_e32 v75, 0xbf167918, v79
	v_mul_f32_e32 v79, 0x3f4f1bbd, v79
	global_inv scope:SCOPE_SE
	v_fmac_f32_e32 v75, 0x3f4f1bbd, v48
	v_fmac_f32_e32 v99, 0xbf167918, v82
	v_fmac_f32_e32 v79, 0x3f167918, v48
	v_mul_f32_e32 v76, 0xbf737871, v100
	s_delay_alu instid0(VALU_DEP_3) | instskip(NEXT) | instid1(VALU_DEP_3)
	v_dual_sub_f32 v48, v68, v75 :: v_dual_fmac_f32 v99, 0x3e9e377a, v96
	v_sub_f32_e32 v49, v71, v79
	s_delay_alu instid0(VALU_DEP_2) | instskip(NEXT) | instid1(VALU_DEP_1)
	v_fmac_f32_e32 v80, 0x3f737871, v99
	v_dual_fmac_f32 v76, 0x3e9e377a, v99 :: v_dual_sub_f32 v51, v72, v80
	s_delay_alu instid0(VALU_DEP_1)
	v_sub_f32_e32 v50, v67, v76
	s_and_saveexec_b32 s1, vcc_lo
	s_cbranch_execz .LBB0_17
; %bb.16:
	v_dual_mul_f32 v101, 0x3f737871, v81 :: v_dual_mul_f32 v104, 0x3f737871, v82
	v_dual_mul_f32 v81, 0x3f167918, v81 :: v_dual_mul_f32 v106, 0x3f167918, v92
	v_mul_f32_e32 v103, 0x3f737871, v91
	v_dual_mul_f32 v102, 0x3f167918, v85 :: v_dual_mul_f32 v105, 0x3f167918, v87
	v_mul_f32_e32 v85, 0x3f737871, v85
	v_dual_mul_f32 v98, 0x3e9e377a, v98 :: v_dual_mul_f32 v95, 0x3e9e377a, v95
	s_delay_alu instid0(VALU_DEP_4) | instskip(SKIP_2) | instid1(VALU_DEP_3)
	v_sub_f32_e32 v94, v94, v103
	v_dual_add_f32 v83, v104, v83 :: v_dual_mul_f32 v82, 0x3f167918, v82
	v_dual_mul_f32 v90, 0x3e9e377a, v90 :: v_dual_mul_f32 v97, 0x3e9e377a, v97
	v_dual_sub_f32 v94, v94, v106 :: v_dual_mul_f32 v87, 0x3f737871, v87
	v_sub_f32_e32 v74, v74, v101
	s_delay_alu instid0(VALU_DEP_4) | instskip(NEXT) | instid1(VALU_DEP_3)
	v_dual_mul_f32 v96, 0x3e9e377a, v96 :: v_dual_add_f32 v83, v105, v83
	v_dual_add_f32 v94, v95, v94 :: v_dual_mul_f32 v91, 0x3f167918, v91
	v_dual_mul_f32 v92, 0x3f737871, v92 :: v_dual_mul_f32 v99, 0x3f737871, v77
	v_dual_mul_f32 v100, 0x3f167918, v78 :: v_dual_mul_f32 v77, 0x3f167918, v77
	s_delay_alu instid0(VALU_DEP_4) | instskip(NEXT) | instid1(VALU_DEP_3)
	v_dual_mul_f32 v78, 0x3f737871, v78 :: v_dual_add_f32 v83, v97, v83
	v_dual_mul_f32 v95, 0xbf4f1bbd, v94 :: v_dual_add_f32 v88, v92, v88
	v_dual_sub_f32 v74, v74, v102 :: v_dual_add_f32 v43, v47, v43
	v_add_f32_e32 v41, v45, v41
	s_delay_alu instid0(VALU_DEP_3) | instskip(SKIP_1) | instid1(VALU_DEP_4)
	v_fmac_f32_e32 v95, 0x3f167918, v83
	v_mul_f32_e32 v92, 0x3e9e377a, v93
	v_dual_add_f32 v74, v90, v74 :: v_dual_add_f32 v39, v39, v43
	v_dual_sub_f32 v86, v86, v87 :: v_dual_add_f32 v45, v85, v73
	v_dual_sub_f32 v87, v88, v91 :: v_dual_mul_f32 v84, 0x3e9e377a, v84
	v_mul_f32_e32 v89, 0x3e9e377a, v89
	s_delay_alu instid0(VALU_DEP_4) | instskip(SKIP_3) | instid1(VALU_DEP_2)
	v_add_f32_e32 v35, v35, v39
	v_add_f32_e32 v39, v46, v42
	;; [unrolled: 1-line block ×3, first 2 shown]
	v_dual_add_f32 v47, v92, v87 :: v_dual_add_f32 v42, v99, v70
	v_add_f32_e32 v33, v33, v37
	s_delay_alu instid0(VALU_DEP_1) | instskip(SKIP_2) | instid1(VALU_DEP_2)
	v_add_f32_e32 v33, v1, v33
	v_add_f32_e32 v1, v44, v40
	;; [unrolled: 1-line block ×3, first 2 shown]
	v_dual_add_f32 v1, v36, v1 :: v_dual_add_f32 v36, v38, v39
	v_sub_f32_e32 v41, v45, v81
	s_delay_alu instid0(VALU_DEP_2) | instskip(NEXT) | instid1(VALU_DEP_3)
	v_dual_sub_f32 v38, v69, v78 :: v_dual_add_f32 v1, v32, v1
	v_dual_add_f32 v32, v34, v36 :: v_dual_mul_f32 v43, 0xbe9e377a, v47
	s_delay_alu instid0(VALU_DEP_2) | instskip(SKIP_1) | instid1(VALU_DEP_4)
	v_add_f32_e32 v36, v77, v38
	v_mul_f32_e32 v38, 0x3f737871, v47
	v_add_f32_e32 v0, v0, v1
	s_delay_alu instid0(VALU_DEP_4) | instskip(SKIP_2) | instid1(VALU_DEP_2)
	v_add_f32_e32 v32, v2, v32
	v_dual_add_f32 v73, v82, v86 :: v_dual_add_f32 v40, v3, v35
	v_dual_mul_f32 v34, 0x3f167918, v94 :: v_dual_add_f32 v47, v89, v36
	v_dual_add_f32 v45, v96, v73 :: v_dual_and_b32 v36, 0xffff, v62
	s_delay_alu instid0(VALU_DEP_4) | instskip(NEXT) | instid1(VALU_DEP_3)
	v_dual_sub_f32 v37, v74, v95 :: v_dual_sub_f32 v2, v0, v32
	v_fma_f32 v34, 0xbf4f1bbd, v83, -v34
	v_add_f32_e32 v1, v74, v95
	s_delay_alu instid0(VALU_DEP_4) | instskip(SKIP_4) | instid1(VALU_DEP_4)
	v_fma_f32 v69, 0xbe9e377a, v45, -v38
	v_add_f32_e32 v39, v100, v42
	v_add_f32_e32 v41, v98, v41
	v_fmac_f32_e32 v43, 0x3f737871, v45
	v_dual_add_f32 v45, v71, v79 :: v_dual_add_f32 v42, v32, v0
	v_add_f32_e32 v46, v84, v39
	v_lshl_add_u32 v32, v36, 3, v58
	s_delay_alu instid0(VALU_DEP_4)
	v_dual_sub_f32 v35, v41, v43 :: v_dual_add_f32 v38, v67, v76
	v_add_f32_e32 v41, v41, v43
	v_add_f32_e32 v43, v40, v33
	v_dual_sub_f32 v3, v33, v40 :: v_dual_sub_f32 v36, v46, v34
	v_dual_add_f32 v39, v72, v80 :: v_dual_add_f32 v40, v47, v69
	v_add_f32_e32 v0, v46, v34
	v_sub_f32_e32 v34, v47, v69
	ds_store_b128 v32, v[42:45]
	ds_store_b128 v32, v[38:41] offset:16
	ds_store_b128 v32, v[0:3] offset:32
	;; [unrolled: 1-line block ×4, first 2 shown]
.LBB0_17:
	s_wait_alu 0xfffe
	s_or_b32 exec_lo, exec_lo, s1
	v_add_nc_u32_e32 v32, 0x400, v59
	v_add_nc_u32_e32 v0, 0xc00, v59
	global_wb scope:SCOPE_SE
	s_wait_dscnt 0x0
	s_barrier_signal -1
	s_barrier_wait -1
	global_inv scope:SCOPE_SE
	ds_load_2addr_b64 v[33:36], v32 offset0:112 offset1:232
	ds_load_2addr_b64 v[37:40], v0 offset0:96 offset1:216
	ds_load_2addr_b64 v[0:3], v59 offset1:120
	global_wb scope:SCOPE_SE
	s_wait_dscnt 0x0
	s_barrier_signal -1
	s_barrier_wait -1
	global_inv scope:SCOPE_SE
	v_mul_f32_e32 v41, v9, v34
	v_dual_mul_f32 v9, v9, v33 :: v_dual_mul_f32 v42, v11, v38
	v_mul_f32_e32 v43, v5, v36
	v_dual_mul_f32 v5, v5, v35 :: v_dual_mul_f32 v44, v7, v40
	v_mul_f32_e32 v11, v11, v37
	s_delay_alu instid0(VALU_DEP_4)
	v_dual_mul_f32 v7, v7, v39 :: v_dual_fmac_f32 v42, v10, v37
	v_fmac_f32_e32 v41, v8, v33
	v_fma_f32 v8, v8, v34, -v9
	v_fmac_f32_e32 v44, v6, v39
	v_fma_f32 v9, v10, v38, -v11
	v_fma_f32 v11, v6, v40, -v7
	s_delay_alu instid0(VALU_DEP_4) | instskip(SKIP_3) | instid1(VALU_DEP_4)
	v_dual_add_f32 v10, v1, v8 :: v_dual_fmac_f32 v43, v4, v35
	v_add_f32_e32 v6, v41, v42
	v_fma_f32 v4, v4, v36, -v5
	v_dual_add_f32 v5, v0, v41 :: v_dual_sub_f32 v34, v41, v42
	v_dual_sub_f32 v7, v8, v9 :: v_dual_add_f32 v36, v43, v44
	s_delay_alu instid0(VALU_DEP_3)
	v_dual_add_f32 v33, v8, v9 :: v_dual_add_f32 v38, v3, v4
	v_add_f32_e32 v35, v2, v43
	v_add_f32_e32 v39, v4, v11
	v_fma_f32 v8, -0.5, v6, v0
	v_dual_sub_f32 v37, v4, v11 :: v_dual_add_f32 v4, v5, v42
	v_add_f32_e32 v5, v10, v9
	v_fma_f32 v9, -0.5, v33, v1
	v_fma_f32 v2, -0.5, v36, v2
	v_fmamk_f32 v6, v7, 0xbf5db3d7, v8
	v_dual_fmac_f32 v8, 0x3f5db3d7, v7 :: v_dual_sub_f32 v33, v43, v44
	v_dual_add_f32 v10, v35, v44 :: v_dual_fmac_f32 v3, -0.5, v39
	s_delay_alu instid0(VALU_DEP_4)
	v_fmamk_f32 v0, v37, 0xbf5db3d7, v2
	v_dual_fmamk_f32 v7, v34, 0x3f5db3d7, v9 :: v_dual_fmac_f32 v2, 0x3f5db3d7, v37
	v_fmac_f32_e32 v9, 0xbf5db3d7, v34
	v_add_f32_e32 v11, v38, v11
	v_fmamk_f32 v1, v33, 0x3f5db3d7, v3
	v_fmac_f32_e32 v3, 0xbf5db3d7, v33
	ds_store_2addr_b64 v63, v[4:5], v[6:7] offset1:10
	ds_store_b64 v63, v[8:9] offset:160
	ds_store_2addr_b64 v64, v[10:11], v[0:1] offset1:10
	ds_store_b64 v64, v[2:3] offset:160
	global_wb scope:SCOPE_SE
	s_wait_dscnt 0x0
	s_barrier_signal -1
	s_barrier_wait -1
	global_inv scope:SCOPE_SE
	s_and_saveexec_b32 s1, s0
	s_cbranch_execz .LBB0_19
; %bb.18:
	v_add_nc_u32_e32 v0, 0x800, v59
	v_add_nc_u32_e32 v33, 0x1000, v59
	ds_load_2addr_b64 v[4:7], v59 offset1:90
	ds_load_2addr_b64 v[8:11], v32 offset0:52 offset1:142
	ds_load_2addr_b64 v[0:3], v0 offset0:104 offset1:194
	;; [unrolled: 1-line block ×3, first 2 shown]
.LBB0_19:
	s_wait_alu 0xfffe
	s_or_b32 exec_lo, exec_lo, s1
	v_add_nc_u32_e32 v32, 0x3c0, v66
	global_wb scope:SCOPE_SE
	s_wait_dscnt 0x0
	s_barrier_signal -1
	s_barrier_wait -1
	global_inv scope:SCOPE_SE
	s_and_saveexec_b32 s1, s0
	s_cbranch_execz .LBB0_21
; %bb.20:
	v_dual_mul_f32 v33, v15, v0 :: v_dual_mul_f32 v36, v17, v6
	v_mul_f32_e32 v35, v23, v49
	v_dual_mul_f32 v34, v19, v9 :: v_dual_mul_f32 v37, v21, v2
	s_delay_alu instid0(VALU_DEP_3) | instskip(NEXT) | instid1(VALU_DEP_3)
	v_fma_f32 v33, v14, v1, -v33
	v_dual_mul_f32 v38, v13, v11 :: v_dual_fmac_f32 v35, v22, v48
	s_delay_alu instid0(VALU_DEP_3) | instskip(SKIP_1) | instid1(VALU_DEP_4)
	v_fmac_f32_e32 v34, v18, v8
	v_mul_f32_e32 v39, v54, v51
	v_sub_f32_e32 v33, v5, v33
	v_fma_f32 v36, v16, v7, -v36
	s_delay_alu instid0(VALU_DEP_4) | instskip(SKIP_4) | instid1(VALU_DEP_4)
	v_dual_fmac_f32 v38, v12, v10 :: v_dual_sub_f32 v35, v34, v35
	v_mul_f32_e32 v10, v13, v10
	v_mul_f32_e32 v8, v19, v8
	v_fma_f32 v37, v20, v3, -v37
	v_mul_f32_e32 v13, v54, v50
	v_fma_f32 v10, v12, v11, -v10
	v_mul_f32_e32 v12, v23, v48
	s_delay_alu instid0(VALU_DEP_4) | instskip(SKIP_2) | instid1(VALU_DEP_3)
	v_dual_sub_f32 v40, v33, v35 :: v_dual_sub_f32 v37, v36, v37
	v_mul_f32_e32 v1, v15, v1
	v_fma_f32 v11, v53, v51, -v13
	v_fma_f32 v19, v36, 2.0, -v37
	s_delay_alu instid0(VALU_DEP_3) | instskip(SKIP_4) | instid1(VALU_DEP_3)
	v_fmac_f32_e32 v1, v14, v0
	v_fma_f32 v14, v5, 2.0, -v33
	v_mul_f32_e32 v3, v21, v3
	v_fmac_f32_e32 v39, v53, v50
	v_fma_f32 v21, v33, 2.0, -v40
	v_fmac_f32_e32 v3, v20, v2
	v_fma_f32 v2, v18, v9, -v8
	v_mul_f32_e32 v7, v17, v7
	v_sub_f32_e32 v9, v10, v11
	s_delay_alu instid0(VALU_DEP_2) | instskip(SKIP_1) | instid1(VALU_DEP_1)
	v_fmac_f32_e32 v7, v16, v6
	v_fma_f32 v6, v22, v49, -v12
	v_sub_f32_e32 v0, v2, v6
	v_sub_f32_e32 v6, v4, v1
	s_delay_alu instid0(VALU_DEP_2) | instskip(NEXT) | instid1(VALU_DEP_2)
	v_fma_f32 v2, v2, 2.0, -v0
	v_fma_f32 v18, v4, 2.0, -v6
	;; [unrolled: 1-line block ×3, first 2 shown]
	s_delay_alu instid0(VALU_DEP_3) | instskip(SKIP_2) | instid1(VALU_DEP_4)
	v_sub_f32_e32 v16, v14, v2
	v_fma_f32 v2, v34, 2.0, -v35
	v_sub_f32_e32 v11, v7, v3
	v_sub_f32_e32 v10, v19, v4
	s_delay_alu instid0(VALU_DEP_4) | instskip(NEXT) | instid1(VALU_DEP_4)
	v_fma_f32 v14, v14, 2.0, -v16
	v_sub_f32_e32 v20, v18, v2
	s_delay_alu instid0(VALU_DEP_4) | instskip(SKIP_1) | instid1(VALU_DEP_3)
	v_add_f32_e32 v12, v9, v11
	v_fma_f32 v15, v7, 2.0, -v11
	v_add_f32_e32 v4, v20, v10
	s_delay_alu instid0(VALU_DEP_3) | instskip(SKIP_3) | instid1(VALU_DEP_3)
	v_fma_f32 v11, v11, 2.0, -v12
	v_add_f32_e32 v13, v0, v6
	v_sub_f32_e32 v39, v38, v39
	v_fma_f32 v10, v19, 2.0, -v10
	v_fmamk_f32 v0, v12, 0x3f3504f3, v13
	s_delay_alu instid0(VALU_DEP_3) | instskip(SKIP_2) | instid1(VALU_DEP_3)
	v_sub_f32_e32 v8, v37, v39
	v_fma_f32 v3, v38, 2.0, -v39
	v_fma_f32 v6, v6, 2.0, -v13
	v_fmamk_f32 v1, v8, 0x3f3504f3, v40
	v_fmac_f32_e32 v0, 0x3f3504f3, v8
	v_fma_f32 v22, v37, 2.0, -v8
	s_delay_alu instid0(VALU_DEP_4) | instskip(SKIP_4) | instid1(VALU_DEP_4)
	v_fmamk_f32 v8, v11, 0xbf3504f3, v6
	v_sub_f32_e32 v17, v15, v3
	v_fmac_f32_e32 v1, 0xbf3504f3, v12
	v_fma_f32 v2, v13, 2.0, -v0
	v_mul_u32_u24_e32 v13, 0xf0, v65
	v_dual_fmac_f32 v8, 0x3f3504f3, v22 :: v_dual_sub_f32 v5, v16, v17
	v_fma_f32 v12, v15, 2.0, -v17
	v_fma_f32 v3, v40, 2.0, -v1
	s_delay_alu instid0(VALU_DEP_4) | instskip(NEXT) | instid1(VALU_DEP_4)
	v_add_nc_u32_e32 v17, v13, v61
	v_fma_f32 v7, v16, 2.0, -v5
	v_fma_f32 v16, v18, 2.0, -v20
	v_fmamk_f32 v9, v22, 0xbf3504f3, v21
	s_delay_alu instid0(VALU_DEP_1) | instskip(NEXT) | instid1(VALU_DEP_3)
	v_fmac_f32_e32 v9, 0xbf3504f3, v11
	v_dual_sub_f32 v11, v14, v10 :: v_dual_sub_f32 v10, v16, v12
	v_fma_f32 v12, v6, 2.0, -v8
	v_fma_f32 v6, v20, 2.0, -v4
	s_delay_alu instid0(VALU_DEP_4) | instskip(NEXT) | instid1(VALU_DEP_4)
	v_fma_f32 v13, v21, 2.0, -v9
	v_fma_f32 v15, v14, 2.0, -v11
	;; [unrolled: 1-line block ×3, first 2 shown]
	v_lshl_add_u32 v16, v17, 3, v58
	ds_store_2addr_b64 v16, v[14:15], v[12:13] offset1:30
	ds_store_2addr_b64 v16, v[6:7], v[2:3] offset0:60 offset1:90
	ds_store_2addr_b64 v16, v[10:11], v[8:9] offset0:120 offset1:150
	;; [unrolled: 1-line block ×3, first 2 shown]
.LBB0_21:
	s_wait_alu 0xfffe
	s_or_b32 exec_lo, exec_lo, s1
	v_add_nc_u32_e32 v0, 0x400, v59
	v_add_nc_u32_e32 v4, 0xc00, v59
	global_wb scope:SCOPE_SE
	s_wait_dscnt 0x0
	s_barrier_signal -1
	s_barrier_wait -1
	global_inv scope:SCOPE_SE
	ds_load_2addr_b64 v[0:3], v0 offset0:112 offset1:232
	ds_load_2addr_b64 v[4:7], v4 offset0:96 offset1:216
	ds_load_2addr_b64 v[8:11], v59 offset1:120
	s_wait_dscnt 0x2
	v_mul_f32_e32 v13, v25, v0
	s_wait_dscnt 0x1
	v_dual_mul_f32 v12, v25, v1 :: v_dual_mul_f32 v19, v31, v6
	v_dual_mul_f32 v14, v27, v5 :: v_dual_mul_f32 v17, v29, v2
	v_mul_f32_e32 v15, v27, v4
	s_delay_alu instid0(VALU_DEP_3) | instskip(SKIP_2) | instid1(VALU_DEP_4)
	v_fmac_f32_e32 v12, v24, v0
	v_mul_f32_e32 v16, v29, v3
	v_fma_f32 v0, v24, v1, -v13
	v_fma_f32 v1, v26, v5, -v15
	v_mul_f32_e32 v18, v31, v7
	v_fma_f32 v7, v30, v7, -v19
	v_fmac_f32_e32 v16, v28, v2
	v_fma_f32 v2, v28, v3, -v17
	v_dual_fmac_f32 v14, v26, v4 :: v_dual_add_f32 v13, v0, v1
	v_sub_f32_e32 v5, v0, v1
	s_delay_alu instid0(VALU_DEP_3)
	v_add_f32_e32 v21, v2, v7
	v_fmac_f32_e32 v18, v30, v6
	v_sub_f32_e32 v19, v2, v7
	s_wait_dscnt 0x0
	v_add_f32_e32 v3, v8, v12
	v_dual_add_f32 v4, v12, v14 :: v_dual_add_f32 v15, v10, v16
	v_dual_add_f32 v20, v11, v2 :: v_dual_fmac_f32 v11, -0.5, v21
	v_dual_add_f32 v6, v9, v0 :: v_dual_add_f32 v17, v16, v18
	v_sub_f32_e32 v12, v12, v14
	s_delay_alu instid0(VALU_DEP_4) | instskip(NEXT) | instid1(VALU_DEP_3)
	v_fma_f32 v2, -0.5, v4, v8
	v_dual_add_f32 v1, v6, v1 :: v_dual_add_f32 v0, v3, v14
	v_fma_f32 v3, -0.5, v13, v9
	v_fma_f32 v10, -0.5, v17, v10
	s_delay_alu instid0(VALU_DEP_4)
	v_fmamk_f32 v4, v5, 0xbf5db3d7, v2
	v_fmac_f32_e32 v2, 0x3f5db3d7, v5
	v_add_nc_u32_e32 v13, 0x780, v60
	v_fmamk_f32 v5, v12, 0x3f5db3d7, v3
	v_dual_fmac_f32 v3, 0xbf5db3d7, v12 :: v_dual_sub_f32 v12, v16, v18
	v_dual_add_f32 v6, v15, v18 :: v_dual_add_f32 v7, v20, v7
	v_fmamk_f32 v8, v19, 0xbf5db3d7, v10
	s_delay_alu instid0(VALU_DEP_3)
	v_dual_fmac_f32 v10, 0x3f5db3d7, v19 :: v_dual_fmamk_f32 v9, v12, 0x3f5db3d7, v11
	v_fmac_f32_e32 v11, 0xbf5db3d7, v12
	v_add_nc_u32_e32 v12, 0x780, v32
	ds_store_2addr_b64 v13, v[4:5], v[2:3] offset1:240
	ds_store_2addr_b64 v60, v[0:1], v[6:7] offset1:120
	;; [unrolled: 1-line block ×3, first 2 shown]
	global_wb scope:SCOPE_SE
	s_wait_dscnt 0x0
	s_barrier_signal -1
	s_barrier_wait -1
	global_inv scope:SCOPE_SE
	s_and_b32 exec_lo, exec_lo, vcc_lo
	s_cbranch_execz .LBB0_23
; %bb.22:
	s_clause 0x9
	global_load_b64 v[16:17], v57, s[10:11]
	global_load_b64 v[18:19], v57, s[10:11] offset:576
	global_load_b64 v[20:21], v57, s[10:11] offset:1152
	;; [unrolled: 1-line block ×9, first 2 shown]
	v_lshl_add_u32 v42, v56, 3, v57
	ds_load_b64 v[36:37], v60
	v_mad_co_u64_u32 v[38:39], null, s6, v52, 0
	v_mad_co_u64_u32 v[40:41], null, s4, v55, 0
	ds_load_2addr_b64 v[0:3], v42 offset0:72 offset1:144
	v_add_nc_u32_e32 v4, 0x400, v42
	v_add_nc_u32_e32 v8, 0x800, v42
	;; [unrolled: 1-line block ×3, first 2 shown]
	s_mov_b32 s0, 0x16c16c17
	s_mov_b32 s1, 0x3f56c16c
	v_mad_co_u64_u32 v[44:45], null, s7, v52, v[39:40]
	s_wait_loadcnt_dscnt 0x901
	v_mul_f32_e32 v39, v37, v17
	s_wait_loadcnt_dscnt 0x800
	v_mul_f32_e32 v45, v1, v19
	ds_load_2addr_b64 v[4:7], v4 offset0:88 offset1:160
	v_mul_f32_e32 v17, v36, v17
	ds_load_2addr_b64 v[8:11], v8 offset0:104 offset1:176
	ds_load_2addr_b64 v[12:15], v12 offset0:120 offset1:192
	ds_load_b64 v[42:43], v42 offset:5184
	s_wait_loadcnt 0x7
	v_dual_mul_f32 v19, v0, v19 :: v_dual_mul_f32 v46, v3, v21
	v_mul_f32_e32 v21, v2, v21
	v_fmac_f32_e32 v39, v36, v16
	v_fma_f32 v16, v16, v37, -v17
	v_fmac_f32_e32 v45, v0, v18
	v_fma_f32 v17, v18, v1, -v19
	v_fma_f32 v18, v20, v3, -v21
	v_cvt_f64_f32_e32 v[0:1], v39
	v_dual_mov_b32 v39, v44 :: v_dual_fmac_f32 v46, v2, v20
	v_cvt_f64_f32_e32 v[2:3], v16
	s_delay_alu instid0(VALU_DEP_2)
	v_lshlrev_b64_e32 v[38:39], 3, v[38:39]
	s_wait_loadcnt_dscnt 0x101
	v_dual_mul_f32 v49, v9, v27 :: v_dual_mul_f32 v52, v15, v33
	s_wait_loadcnt_dscnt 0x0
	v_mul_f32_e32 v53, v43, v35
	v_mul_f32_e32 v35, v42, v35
	v_dual_mul_f32 v47, v5, v23 :: v_dual_mul_f32 v48, v7, v25
	v_dual_mul_f32 v23, v4, v23 :: v_dual_mul_f32 v50, v11, v29
	v_mul_f32_e32 v25, v6, v25
	v_mul_f32_e32 v27, v8, v27
	;; [unrolled: 1-line block ×3, first 2 shown]
	v_fmac_f32_e32 v52, v14, v32
	v_fmac_f32_e32 v53, v42, v34
	v_fma_f32 v42, v34, v43, -v35
	v_dual_mul_f32 v51, v13, v31 :: v_dual_fmac_f32 v48, v6, v24
	v_dual_mul_f32 v31, v12, v31 :: v_dual_fmac_f32 v50, v10, v28
	v_mul_f32_e32 v33, v14, v33
	v_fmac_f32_e32 v47, v4, v22
	v_fma_f32 v19, v22, v5, -v23
	v_fma_f32 v20, v24, v7, -v25
	v_fmac_f32_e32 v49, v8, v26
	v_fma_f32 v22, v26, v9, -v27
	v_fma_f32 v26, v28, v11, -v29
	v_cvt_f64_f32_e32 v[4:5], v45
	v_cvt_f64_f32_e32 v[6:7], v17
	;; [unrolled: 1-line block ×3, first 2 shown]
	v_fmac_f32_e32 v51, v12, v30
	v_fma_f32 v30, v30, v13, -v31
	v_cvt_f64_f32_e32 v[8:9], v46
	v_cvt_f64_f32_e32 v[10:11], v18
	v_fma_f32 v36, v32, v15, -v33
	v_cvt_f64_f32_e32 v[12:13], v47
	v_cvt_f64_f32_e32 v[14:15], v19
	;; [unrolled: 1-line block ×13, first 2 shown]
	s_wait_alu 0xfffe
	v_mul_f64_e32 v[0:1], s[0:1], v[0:1]
	v_mul_f64_e32 v[2:3], s[0:1], v[2:3]
	v_add_co_u32 v44, vcc_lo, s8, v38
	v_mul_f64_e32 v[4:5], s[0:1], v[4:5]
	v_mul_f64_e32 v[6:7], s[0:1], v[6:7]
	v_mad_co_u64_u32 v[45:46], null, s5, v55, v[41:42]
	v_mul_f64_e32 v[8:9], s[0:1], v[8:9]
	v_mul_f64_e32 v[10:11], s[0:1], v[10:11]
	;; [unrolled: 1-line block ×14, first 2 shown]
	v_mov_b32_e32 v41, v45
	s_wait_alu 0xfffd
	v_add_co_ci_u32_e32 v45, vcc_lo, s9, v39, vcc_lo
	v_mul_f64_e32 v[36:37], s[0:1], v[36:37]
	v_mul_f64_e32 v[38:39], s[0:1], v[42:43]
	v_lshlrev_b64_e32 v[40:41], 3, v[40:41]
	s_mul_u64 s[0:1], s[4:5], 0x240
	v_cvt_f32_f64_e32 v0, v[0:1]
	v_cvt_f32_f64_e32 v1, v[2:3]
	s_delay_alu instid0(VALU_DEP_3) | instskip(SKIP_3) | instid1(VALU_DEP_2)
	v_add_co_u32 v40, vcc_lo, v44, v40
	s_wait_alu 0xfffd
	v_add_co_ci_u32_e32 v41, vcc_lo, v45, v41, vcc_lo
	s_wait_alu 0xfffe
	v_add_co_u32 v42, vcc_lo, v40, s0
	s_wait_alu 0xfffd
	s_delay_alu instid0(VALU_DEP_2) | instskip(SKIP_1) | instid1(VALU_DEP_3)
	v_add_co_ci_u32_e32 v43, vcc_lo, s1, v41, vcc_lo
	v_cvt_f32_f64_e32 v2, v[4:5]
	v_add_co_u32 v44, vcc_lo, v42, s0
	v_cvt_f32_f64_e32 v3, v[6:7]
	v_cvt_f32_f64_e32 v4, v[8:9]
	;; [unrolled: 1-line block ×3, first 2 shown]
	s_wait_alu 0xfffd
	v_add_co_ci_u32_e32 v45, vcc_lo, s1, v43, vcc_lo
	v_cvt_f32_f64_e32 v6, v[12:13]
	v_cvt_f32_f64_e32 v7, v[14:15]
	;; [unrolled: 1-line block ×6, first 2 shown]
	v_add_co_u32 v46, vcc_lo, v44, s0
	v_cvt_f32_f64_e32 v12, v[24:25]
	v_cvt_f32_f64_e32 v13, v[26:27]
	;; [unrolled: 1-line block ×4, first 2 shown]
	s_wait_alu 0xfffd
	v_add_co_ci_u32_e32 v47, vcc_lo, s1, v45, vcc_lo
	v_cvt_f32_f64_e32 v16, v[32:33]
	v_cvt_f32_f64_e32 v17, v[34:35]
	;; [unrolled: 1-line block ×4, first 2 shown]
	v_add_co_u32 v20, vcc_lo, v46, s0
	s_wait_alu 0xfffd
	v_add_co_ci_u32_e32 v21, vcc_lo, s1, v47, vcc_lo
	s_delay_alu instid0(VALU_DEP_2) | instskip(SKIP_1) | instid1(VALU_DEP_2)
	v_add_co_u32 v22, vcc_lo, v20, s0
	s_wait_alu 0xfffd
	v_add_co_ci_u32_e32 v23, vcc_lo, s1, v21, vcc_lo
	s_delay_alu instid0(VALU_DEP_2) | instskip(SKIP_1) | instid1(VALU_DEP_2)
	;; [unrolled: 4-line block ×5, first 2 shown]
	v_add_co_u32 v30, vcc_lo, v28, s0
	s_wait_alu 0xfffd
	v_add_co_ci_u32_e32 v31, vcc_lo, s1, v29, vcc_lo
	s_clause 0x4
	global_store_b64 v[40:41], v[0:1], off
	global_store_b64 v[42:43], v[2:3], off
	;; [unrolled: 1-line block ×10, first 2 shown]
.LBB0_23:
	s_nop 0
	s_sendmsg sendmsg(MSG_DEALLOC_VGPRS)
	s_endpgm
	.section	.rodata,"a",@progbits
	.p2align	6, 0x0
	.amdhsa_kernel bluestein_single_back_len720_dim1_sp_op_CI_CI
		.amdhsa_group_segment_fixed_size 11520
		.amdhsa_private_segment_fixed_size 0
		.amdhsa_kernarg_size 104
		.amdhsa_user_sgpr_count 2
		.amdhsa_user_sgpr_dispatch_ptr 0
		.amdhsa_user_sgpr_queue_ptr 0
		.amdhsa_user_sgpr_kernarg_segment_ptr 1
		.amdhsa_user_sgpr_dispatch_id 0
		.amdhsa_user_sgpr_private_segment_size 0
		.amdhsa_wavefront_size32 1
		.amdhsa_uses_dynamic_stack 0
		.amdhsa_enable_private_segment 0
		.amdhsa_system_sgpr_workgroup_id_x 1
		.amdhsa_system_sgpr_workgroup_id_y 0
		.amdhsa_system_sgpr_workgroup_id_z 0
		.amdhsa_system_sgpr_workgroup_info 0
		.amdhsa_system_vgpr_workitem_id 0
		.amdhsa_next_free_vgpr 116
		.amdhsa_next_free_sgpr 16
		.amdhsa_reserve_vcc 1
		.amdhsa_float_round_mode_32 0
		.amdhsa_float_round_mode_16_64 0
		.amdhsa_float_denorm_mode_32 3
		.amdhsa_float_denorm_mode_16_64 3
		.amdhsa_fp16_overflow 0
		.amdhsa_workgroup_processor_mode 1
		.amdhsa_memory_ordered 1
		.amdhsa_forward_progress 0
		.amdhsa_round_robin_scheduling 0
		.amdhsa_exception_fp_ieee_invalid_op 0
		.amdhsa_exception_fp_denorm_src 0
		.amdhsa_exception_fp_ieee_div_zero 0
		.amdhsa_exception_fp_ieee_overflow 0
		.amdhsa_exception_fp_ieee_underflow 0
		.amdhsa_exception_fp_ieee_inexact 0
		.amdhsa_exception_int_div_zero 0
	.end_amdhsa_kernel
	.text
.Lfunc_end0:
	.size	bluestein_single_back_len720_dim1_sp_op_CI_CI, .Lfunc_end0-bluestein_single_back_len720_dim1_sp_op_CI_CI
                                        ; -- End function
	.section	.AMDGPU.csdata,"",@progbits
; Kernel info:
; codeLenInByte = 8668
; NumSgprs: 18
; NumVgprs: 116
; ScratchSize: 0
; MemoryBound: 0
; FloatMode: 240
; IeeeMode: 1
; LDSByteSize: 11520 bytes/workgroup (compile time only)
; SGPRBlocks: 2
; VGPRBlocks: 14
; NumSGPRsForWavesPerEU: 18
; NumVGPRsForWavesPerEU: 116
; Occupancy: 12
; WaveLimiterHint : 1
; COMPUTE_PGM_RSRC2:SCRATCH_EN: 0
; COMPUTE_PGM_RSRC2:USER_SGPR: 2
; COMPUTE_PGM_RSRC2:TRAP_HANDLER: 0
; COMPUTE_PGM_RSRC2:TGID_X_EN: 1
; COMPUTE_PGM_RSRC2:TGID_Y_EN: 0
; COMPUTE_PGM_RSRC2:TGID_Z_EN: 0
; COMPUTE_PGM_RSRC2:TIDIG_COMP_CNT: 0
	.text
	.p2alignl 7, 3214868480
	.fill 96, 4, 3214868480
	.type	__hip_cuid_b727fec83bf447d4,@object ; @__hip_cuid_b727fec83bf447d4
	.section	.bss,"aw",@nobits
	.globl	__hip_cuid_b727fec83bf447d4
__hip_cuid_b727fec83bf447d4:
	.byte	0                               ; 0x0
	.size	__hip_cuid_b727fec83bf447d4, 1

	.ident	"AMD clang version 19.0.0git (https://github.com/RadeonOpenCompute/llvm-project roc-6.4.0 25133 c7fe45cf4b819c5991fe208aaa96edf142730f1d)"
	.section	".note.GNU-stack","",@progbits
	.addrsig
	.addrsig_sym __hip_cuid_b727fec83bf447d4
	.amdgpu_metadata
---
amdhsa.kernels:
  - .args:
      - .actual_access:  read_only
        .address_space:  global
        .offset:         0
        .size:           8
        .value_kind:     global_buffer
      - .actual_access:  read_only
        .address_space:  global
        .offset:         8
        .size:           8
        .value_kind:     global_buffer
      - .actual_access:  read_only
        .address_space:  global
        .offset:         16
        .size:           8
        .value_kind:     global_buffer
      - .actual_access:  read_only
        .address_space:  global
        .offset:         24
        .size:           8
        .value_kind:     global_buffer
      - .actual_access:  read_only
        .address_space:  global
        .offset:         32
        .size:           8
        .value_kind:     global_buffer
      - .offset:         40
        .size:           8
        .value_kind:     by_value
      - .address_space:  global
        .offset:         48
        .size:           8
        .value_kind:     global_buffer
      - .address_space:  global
        .offset:         56
        .size:           8
        .value_kind:     global_buffer
      - .address_space:  global
        .offset:         64
        .size:           8
        .value_kind:     global_buffer
      - .address_space:  global
        .offset:         72
        .size:           8
        .value_kind:     global_buffer
      - .offset:         80
        .size:           4
        .value_kind:     by_value
      - .address_space:  global
        .offset:         88
        .size:           8
        .value_kind:     global_buffer
      - .address_space:  global
        .offset:         96
        .size:           8
        .value_kind:     global_buffer
    .group_segment_fixed_size: 11520
    .kernarg_segment_align: 8
    .kernarg_segment_size: 104
    .language:       OpenCL C
    .language_version:
      - 2
      - 0
    .max_flat_workgroup_size: 240
    .name:           bluestein_single_back_len720_dim1_sp_op_CI_CI
    .private_segment_fixed_size: 0
    .sgpr_count:     18
    .sgpr_spill_count: 0
    .symbol:         bluestein_single_back_len720_dim1_sp_op_CI_CI.kd
    .uniform_work_group_size: 1
    .uses_dynamic_stack: false
    .vgpr_count:     116
    .vgpr_spill_count: 0
    .wavefront_size: 32
    .workgroup_processor_mode: 1
amdhsa.target:   amdgcn-amd-amdhsa--gfx1201
amdhsa.version:
  - 1
  - 2
...

	.end_amdgpu_metadata
